;; amdgpu-corpus repo=zjin-lcf/HeCBench kind=compiled arch=gfx1250 opt=O3
	.amdgcn_target "amdgcn-amd-amdhsa--gfx1250"
	.amdhsa_code_object_version 6
	.text
	.protected	_Z16bitonicSortLocalPjS_PKjS1_jj ; -- Begin function _Z16bitonicSortLocalPjS_PKjS1_jj
	.globl	_Z16bitonicSortLocalPjS_PKjS1_jj
	.p2align	8
	.type	_Z16bitonicSortLocalPjS_PKjS1_jj,@function
_Z16bitonicSortLocalPjS_PKjS1_jj:       ; @_Z16bitonicSortLocalPjS_PKjS1_jj
; %bb.0:
	s_load_b128 s[8:11], s[0:1], 0x10
	s_bfe_u32 s2, ttmp6, 0x4000c
	s_and_b32 s3, ttmp6, 15
	s_add_co_i32 s2, s2, 1
	s_getreg_b32 s4, hwreg(HW_REG_IB_STS2, 6, 4)
	s_mul_i32 s2, ttmp9, s2
	v_dual_lshlrev_b32 v1, 2, v0 :: v_dual_mov_b32 v3, 0
	s_add_co_i32 s3, s3, s2
	s_cmp_eq_u32 s4, 0
	s_load_b64 s[4:5], s[0:1], 0x20
	s_cselect_b32 s2, ttmp9, s3
	s_delay_alu instid0(SALU_CYCLE_1)
	v_lshl_add_u32 v2, s2, 9, v0
	s_mov_b32 s2, 2
	s_wait_kmcnt 0x0
	s_clause 0x3
	global_load_b32 v4, v2, s[8:9] scale_offset
	global_load_b32 v5, v2, s[10:11] scale_offset
	global_load_b32 v6, v2, s[8:9] offset:1024 scale_offset
	global_load_b32 v7, v2, s[10:11] offset:1024 scale_offset
	s_wait_loadcnt 0x1
	ds_store_2addr_stride64_b32 v1, v4, v6 offset1:4
	s_wait_loadcnt 0x0
	ds_store_2addr_stride64_b32 v1, v5, v7 offset0:8 offset1:12
	s_cmp_lt_u32 s4, 3
	s_cbranch_scc1 .LBB0_8
; %bb.1:
	v_lshlrev_b32_e32 v4, 1, v0
	s_branch .LBB0_3
.LBB0_2:                                ;   in Loop: Header=BB0_3 Depth=1
	s_lshl_b32 s2, s2, 1
	s_delay_alu instid0(SALU_CYCLE_1)
	s_cmp_ge_u32 s2, s4
	s_cbranch_scc1 .LBB0_8
.LBB0_3:                                ; =>This Loop Header: Depth=1
                                        ;     Child Loop BB0_6 Depth 2
	s_cmp_eq_u32 s2, 0
	s_cbranch_scc1 .LBB0_2
; %bb.4:                                ;   in Loop: Header=BB0_3 Depth=1
	s_lshr_b32 s3, s2, 1
	s_delay_alu instid0(SALU_CYCLE_1) | instskip(NEXT) | instid1(VALU_DEP_1)
	v_and_b32_e32 v5, s3, v0
	v_cmp_ne_u32_e32 vcc_lo, 0, v5
	v_cndmask_b32_e64 v5, 0, 1, vcc_lo
	s_delay_alu instid0(VALU_DEP_1)
	v_xor_b32_e32 v5, s5, v5
	s_branch .LBB0_6
.LBB0_5:                                ;   in Loop: Header=BB0_6 Depth=2
	s_or_b32 exec_lo, exec_lo, s6
	s_lshr_b32 s6, s3, 1
	s_cmp_lt_u32 s3, 2
	s_mov_b32 s3, s6
	s_cbranch_scc1 .LBB0_2
.LBB0_6:                                ;   Parent Loop BB0_3 Depth=1
                                        ; =>  This Inner Loop Header: Depth=2
	s_add_co_i32 s6, s3, -1
	s_wait_dscnt 0x0
	v_and_b32_e32 v6, s6, v0
	s_barrier_signal -1
	s_barrier_wait -1
	s_mov_b32 s6, exec_lo
	s_delay_alu instid0(VALU_DEP_1) | instskip(NEXT) | instid1(VALU_DEP_1)
	v_sub_nc_u32_e32 v8, v4, v6
	v_lshlrev_b32_e32 v6, 2, v8
	s_delay_alu instid0(VALU_DEP_1)
	v_lshl_add_u32 v7, s3, 2, v6
	ds_load_b32 v9, v6
	ds_load_b32 v10, v7
	s_wait_dscnt 0x0
	v_cmp_gt_u32_e32 vcc_lo, v9, v10
	v_cndmask_b32_e64 v11, 0, 1, vcc_lo
	s_delay_alu instid0(VALU_DEP_1)
	v_cmpx_eq_u32_e64 v5, v11
	s_cbranch_execz .LBB0_5
; %bb.7:                                ;   in Loop: Header=BB0_6 Depth=2
	v_add_lshl_u32 v8, v8, s3, 2
	ds_load_b32 v11, v8 offset:2048
	ds_load_b32 v12, v6 offset:2048
	ds_store_b32 v6, v10
	ds_store_b32 v7, v9
	s_wait_dscnt 0x3
	ds_store_b32 v6, v11 offset:2048
	s_wait_dscnt 0x3
	ds_store_b32 v8, v12 offset:2048
	s_branch .LBB0_5
.LBB0_8:
	s_load_b128 s[0:3], s[0:1], 0x0
	v_add_nc_u32_e32 v4, 0x800, v1
	s_cmp_lt_u32 s4, 2
	s_cbranch_scc1 .LBB0_13
; %bb.9:
	v_lshlrev_b32_e32 v5, 1, v0
	s_branch .LBB0_11
.LBB0_10:                               ;   in Loop: Header=BB0_11 Depth=1
	s_or_b32 exec_lo, exec_lo, s7
	s_cmp_lt_u32 s4, 4
	s_mov_b32 s4, s6
	s_cbranch_scc1 .LBB0_13
.LBB0_11:                               ; =>This Inner Loop Header: Depth=1
	s_lshr_b32 s6, s4, 1
	s_wait_dscnt 0x0
	s_add_co_i32 s7, s6, -1
	s_barrier_signal -1
	v_and_b32_e32 v6, s7, v0
	s_barrier_wait -1
	s_mov_b32 s7, exec_lo
	s_delay_alu instid0(VALU_DEP_1) | instskip(NEXT) | instid1(VALU_DEP_1)
	v_sub_nc_u32_e32 v8, v5, v6
	v_lshlrev_b32_e32 v6, 2, v8
	s_delay_alu instid0(VALU_DEP_1)
	v_lshl_add_u32 v7, s6, 2, v6
	ds_load_b32 v9, v6
	ds_load_b32 v10, v7
	s_wait_dscnt 0x0
	v_cmp_gt_u32_e32 vcc_lo, v9, v10
	v_cndmask_b32_e64 v11, 0, 1, vcc_lo
	s_delay_alu instid0(VALU_DEP_1)
	v_cmpx_eq_u32_e64 s5, v11
	s_cbranch_execz .LBB0_10
; %bb.12:                               ;   in Loop: Header=BB0_11 Depth=1
	v_add_lshl_u32 v8, v8, s6, 2
	ds_load_b32 v11, v8 offset:2048
	ds_load_b32 v12, v6 offset:2048
	ds_store_b32 v6, v10
	ds_store_b32 v7, v9
	s_wait_dscnt 0x3
	ds_store_b32 v6, v11 offset:2048
	s_wait_dscnt 0x3
	ds_store_b32 v8, v12 offset:2048
	s_branch .LBB0_10
.LBB0_13:
	s_wait_dscnt 0x0
	s_barrier_signal -1
	s_barrier_wait -1
	ds_load_2addr_stride64_b32 v[0:1], v1 offset1:4
	ds_load_2addr_stride64_b32 v[4:5], v4 offset1:4
	v_lshlrev_b64_e32 v[2:3], 2, v[2:3]
	s_wait_kmcnt 0x0
	s_delay_alu instid0(VALU_DEP_1)
	v_add_nc_u64_e32 v[6:7], s[0:1], v[2:3]
	v_add_nc_u64_e32 v[2:3], s[2:3], v[2:3]
	s_wait_dscnt 0x1
	s_clause 0x1
	global_store_b32 v[6:7], v0, off
	global_store_b32 v[6:7], v1, off offset:1024
	s_wait_dscnt 0x0
	s_clause 0x1
	global_store_b32 v[2:3], v4, off
	global_store_b32 v[2:3], v5, off offset:1024
	s_endpgm
	.section	.rodata,"a",@progbits
	.p2align	6, 0x0
	.amdhsa_kernel _Z16bitonicSortLocalPjS_PKjS1_jj
		.amdhsa_group_segment_fixed_size 4096
		.amdhsa_private_segment_fixed_size 0
		.amdhsa_kernarg_size 40
		.amdhsa_user_sgpr_count 2
		.amdhsa_user_sgpr_dispatch_ptr 0
		.amdhsa_user_sgpr_queue_ptr 0
		.amdhsa_user_sgpr_kernarg_segment_ptr 1
		.amdhsa_user_sgpr_dispatch_id 0
		.amdhsa_user_sgpr_kernarg_preload_length 0
		.amdhsa_user_sgpr_kernarg_preload_offset 0
		.amdhsa_user_sgpr_private_segment_size 0
		.amdhsa_wavefront_size32 1
		.amdhsa_uses_dynamic_stack 0
		.amdhsa_enable_private_segment 0
		.amdhsa_system_sgpr_workgroup_id_x 1
		.amdhsa_system_sgpr_workgroup_id_y 0
		.amdhsa_system_sgpr_workgroup_id_z 0
		.amdhsa_system_sgpr_workgroup_info 0
		.amdhsa_system_vgpr_workitem_id 0
		.amdhsa_next_free_vgpr 13
		.amdhsa_next_free_sgpr 12
		.amdhsa_named_barrier_count 0
		.amdhsa_reserve_vcc 1
		.amdhsa_float_round_mode_32 0
		.amdhsa_float_round_mode_16_64 0
		.amdhsa_float_denorm_mode_32 3
		.amdhsa_float_denorm_mode_16_64 3
		.amdhsa_fp16_overflow 0
		.amdhsa_memory_ordered 1
		.amdhsa_forward_progress 1
		.amdhsa_inst_pref_size 6
		.amdhsa_round_robin_scheduling 0
		.amdhsa_exception_fp_ieee_invalid_op 0
		.amdhsa_exception_fp_denorm_src 0
		.amdhsa_exception_fp_ieee_div_zero 0
		.amdhsa_exception_fp_ieee_overflow 0
		.amdhsa_exception_fp_ieee_underflow 0
		.amdhsa_exception_fp_ieee_inexact 0
		.amdhsa_exception_int_div_zero 0
	.end_amdhsa_kernel
	.text
.Lfunc_end0:
	.size	_Z16bitonicSortLocalPjS_PKjS1_jj, .Lfunc_end0-_Z16bitonicSortLocalPjS_PKjS1_jj
                                        ; -- End function
	.set _Z16bitonicSortLocalPjS_PKjS1_jj.num_vgpr, 13
	.set _Z16bitonicSortLocalPjS_PKjS1_jj.num_agpr, 0
	.set _Z16bitonicSortLocalPjS_PKjS1_jj.numbered_sgpr, 12
	.set _Z16bitonicSortLocalPjS_PKjS1_jj.num_named_barrier, 0
	.set _Z16bitonicSortLocalPjS_PKjS1_jj.private_seg_size, 0
	.set _Z16bitonicSortLocalPjS_PKjS1_jj.uses_vcc, 1
	.set _Z16bitonicSortLocalPjS_PKjS1_jj.uses_flat_scratch, 0
	.set _Z16bitonicSortLocalPjS_PKjS1_jj.has_dyn_sized_stack, 0
	.set _Z16bitonicSortLocalPjS_PKjS1_jj.has_recursion, 0
	.set _Z16bitonicSortLocalPjS_PKjS1_jj.has_indirect_call, 0
	.section	.AMDGPU.csdata,"",@progbits
; Kernel info:
; codeLenInByte = 752
; TotalNumSgprs: 14
; NumVgprs: 13
; ScratchSize: 0
; MemoryBound: 0
; FloatMode: 240
; IeeeMode: 1
; LDSByteSize: 4096 bytes/workgroup (compile time only)
; SGPRBlocks: 0
; VGPRBlocks: 0
; NumSGPRsForWavesPerEU: 14
; NumVGPRsForWavesPerEU: 13
; NamedBarCnt: 0
; Occupancy: 16
; WaveLimiterHint : 0
; COMPUTE_PGM_RSRC2:SCRATCH_EN: 0
; COMPUTE_PGM_RSRC2:USER_SGPR: 2
; COMPUTE_PGM_RSRC2:TRAP_HANDLER: 0
; COMPUTE_PGM_RSRC2:TGID_X_EN: 1
; COMPUTE_PGM_RSRC2:TGID_Y_EN: 0
; COMPUTE_PGM_RSRC2:TGID_Z_EN: 0
; COMPUTE_PGM_RSRC2:TIDIG_COMP_CNT: 0
	.text
	.protected	_Z17bitonicSortLocal1PjS_PKjS1_ ; -- Begin function _Z17bitonicSortLocal1PjS_PKjS1_
	.globl	_Z17bitonicSortLocal1PjS_PKjS1_
	.p2align	8
	.type	_Z17bitonicSortLocal1PjS_PKjS1_,@function
_Z17bitonicSortLocal1PjS_PKjS1_:        ; @_Z17bitonicSortLocal1PjS_PKjS1_
; %bb.0:
	s_load_b128 s[4:7], s[0:1], 0x10
	s_bfe_u32 s2, ttmp6, 0x4000c
	s_and_b32 s3, ttmp6, 15
	s_add_co_i32 s2, s2, 1
	s_getreg_b32 s8, hwreg(HW_REG_IB_STS2, 6, 4)
	s_mul_i32 s2, ttmp9, s2
	s_delay_alu instid0(SALU_CYCLE_1) | instskip(SKIP_3) | instid1(SALU_CYCLE_1)
	s_add_co_i32 s3, s3, s2
	s_cmp_eq_u32 s8, 0
	s_load_b32 s2, s[0:1], 0x2c
	s_cselect_b32 s3, ttmp9, s3
	v_lshl_add_u32 v2, s3, 9, v0
	s_wait_kmcnt 0x0
	s_clause 0x3
	global_load_b32 v1, v2, s[4:5] scale_offset
	global_load_b32 v3, v2, s[6:7] scale_offset
	global_load_b32 v4, v2, s[4:5] offset:1024 scale_offset
	global_load_b32 v5, v2, s[6:7] offset:1024 scale_offset
	s_and_b32 s2, s2, 0xffff
	s_delay_alu instid0(SALU_CYCLE_1)
	v_mad_u32 v11, s3, s2, v0
	v_lshlrev_b32_e32 v6, 2, v0
	s_wait_loadcnt 0x1
	ds_store_2addr_stride64_b32 v6, v1, v4 offset1:4
	s_wait_loadcnt 0x0
	ds_store_2addr_stride64_b32 v6, v3, v5 offset0:8 offset1:12
	v_and_b32_e32 v1, 1, v11
	v_add_nc_u32_e32 v7, 0x800, v6
	v_add_nc_u32_e32 v8, v6, v6
	s_wait_dscnt 0x0
	s_barrier_signal -1
	s_barrier_wait -1
	v_add_nc_u32_e32 v12, v7, v6
	ds_load_b64 v[4:5], v8
	v_cmp_eq_u32_e32 vcc_lo, 1, v1
	s_wait_dscnt 0x0
	v_cmp_le_u32_e64 s2, v4, v5
	s_xor_b32 s4, vcc_lo, s2
	s_delay_alu instid0(SALU_CYCLE_1)
	s_and_saveexec_b32 s2, s4
	s_cbranch_execz .LBB1_2
; %bb.1:
	ds_load_b64 v[14:15], v12
	v_dual_mov_b32 v16, v5 :: v_dual_mov_b32 v17, v4
	s_wait_dscnt 0x0
	v_dual_mov_b32 v4, v15 :: v_dual_mov_b32 v5, v14
	ds_store_b64 v8, v[16:17]
	ds_store_b64 v12, v[4:5]
.LBB1_2:
	s_or_b32 exec_lo, exec_lo, s2
	v_dual_lshlrev_b32 v1, 1, v0 :: v_dual_bitop2_b32 v3, 1, v0 bitop3:0x40
	s_wait_dscnt 0x0
	s_barrier_signal -1
	s_barrier_wait -1
	s_delay_alu instid0(VALU_DEP_1) | instskip(NEXT) | instid1(VALU_DEP_1)
	v_sub_nc_u32_e32 v3, v1, v3
	v_lshlrev_b32_e32 v9, 2, v3
	v_and_b32_e32 v3, 2, v11
	ds_load_2addr_b32 v[4:5], v9 offset1:2
	v_cmp_ne_u32_e32 vcc_lo, 0, v3
	s_wait_dscnt 0x0
	v_cmp_le_u32_e64 s2, v4, v5
	s_xor_b32 s2, vcc_lo, s2
	s_delay_alu instid0(SALU_CYCLE_1) | instskip(NEXT) | instid1(SALU_CYCLE_1)
	s_and_saveexec_b32 s4, s2
	s_xor_b32 s2, exec_lo, s4
	s_cbranch_execz .LBB1_4
; %bb.3:
	v_add_nc_u32_e32 v3, 0x800, v9
	ds_load_2addr_b32 v[14:15], v3 offset1:2
	ds_store_2addr_b32 v9, v5, v4 offset1:2
	s_wait_dscnt 0x1
	ds_store_2addr_b32 v3, v15, v14 offset1:2
.LBB1_4:
	s_or_b32 exec_lo, exec_lo, s2
	s_wait_dscnt 0x0
	s_barrier_signal -1
	s_barrier_wait -1
	ds_load_b64 v[4:5], v8
	s_wait_dscnt 0x0
	v_cmp_le_u32_e64 s2, v4, v5
	s_xor_b32 s4, vcc_lo, s2
	s_delay_alu instid0(SALU_CYCLE_1)
	s_and_saveexec_b32 s2, s4
	s_cbranch_execz .LBB1_6
; %bb.5:
	ds_load_b64 v[14:15], v12
	v_dual_mov_b32 v16, v5 :: v_dual_mov_b32 v17, v4
	s_wait_dscnt 0x0
	v_dual_mov_b32 v4, v15 :: v_dual_mov_b32 v5, v14
	ds_store_b64 v8, v[16:17]
	ds_store_b64 v12, v[4:5]
.LBB1_6:
	s_or_b32 exec_lo, exec_lo, s2
	v_and_b32_e32 v3, 3, v0
	s_wait_dscnt 0x0
	s_barrier_signal -1
	s_barrier_wait -1
	s_delay_alu instid0(VALU_DEP_1) | instskip(SKIP_1) | instid1(VALU_DEP_2)
	v_sub_nc_u32_e32 v3, v1, v3
	v_and_b32_e32 v10, 4, v11
	v_lshlrev_b32_e32 v3, 2, v3
	s_delay_alu instid0(VALU_DEP_2) | instskip(SKIP_4) | instid1(SALU_CYCLE_1)
	v_cmp_ne_u32_e32 vcc_lo, 0, v10
	ds_load_2addr_b32 v[4:5], v3 offset1:4
	s_wait_dscnt 0x0
	v_cmp_le_u32_e64 s2, v4, v5
	s_xor_b32 s4, vcc_lo, s2
	s_and_saveexec_b32 s2, s4
	s_cbranch_execz .LBB1_8
; %bb.7:
	v_add_nc_u32_e32 v10, 0x800, v3
	ds_load_2addr_b32 v[14:15], v10 offset1:4
	ds_store_2addr_b32 v3, v5, v4 offset1:4
	s_wait_dscnt 0x1
	ds_store_2addr_b32 v10, v15, v14 offset1:4
.LBB1_8:
	s_or_b32 exec_lo, exec_lo, s2
	s_wait_dscnt 0x0
	s_barrier_signal -1
	s_barrier_wait -1
	ds_load_2addr_b32 v[4:5], v9 offset1:2
	s_wait_dscnt 0x0
	v_cmp_le_u32_e64 s2, v4, v5
	s_xor_b32 s4, vcc_lo, s2
	s_delay_alu instid0(SALU_CYCLE_1)
	s_and_saveexec_b32 s2, s4
	s_cbranch_execz .LBB1_10
; %bb.9:
	v_add_nc_u32_e32 v10, 0x800, v9
	ds_load_2addr_b32 v[14:15], v10 offset1:2
	ds_store_2addr_b32 v9, v5, v4 offset1:2
	s_wait_dscnt 0x1
	ds_store_2addr_b32 v10, v15, v14 offset1:2
.LBB1_10:
	s_or_b32 exec_lo, exec_lo, s2
	s_wait_dscnt 0x0
	s_barrier_signal -1
	s_barrier_wait -1
	ds_load_b64 v[4:5], v8
	s_wait_dscnt 0x0
	v_cmp_le_u32_e64 s2, v4, v5
	s_xor_b32 s4, vcc_lo, s2
	s_delay_alu instid0(SALU_CYCLE_1)
	s_and_saveexec_b32 s2, s4
	s_cbranch_execz .LBB1_12
; %bb.11:
	ds_load_b64 v[14:15], v12
	v_dual_mov_b32 v16, v5 :: v_dual_mov_b32 v17, v4
	s_wait_dscnt 0x0
	v_dual_mov_b32 v4, v15 :: v_dual_mov_b32 v5, v14
	ds_store_b64 v8, v[16:17]
	ds_store_b64 v12, v[4:5]
.LBB1_12:
	s_or_b32 exec_lo, exec_lo, s2
	v_and_b32_e32 v4, 7, v0
	s_wait_dscnt 0x0
	s_barrier_signal -1
	s_barrier_wait -1
	s_delay_alu instid0(VALU_DEP_1) | instskip(NEXT) | instid1(VALU_DEP_1)
	v_dual_sub_nc_u32 v4, v1, v4 :: v_dual_bitop2_b32 v13, 8, v11 bitop3:0x40
	v_lshlrev_b32_e32 v10, 2, v4
	s_delay_alu instid0(VALU_DEP_2) | instskip(SKIP_4) | instid1(SALU_CYCLE_1)
	v_cmp_ne_u32_e32 vcc_lo, 0, v13
	ds_load_2addr_b32 v[4:5], v10 offset1:8
	s_wait_dscnt 0x0
	v_cmp_le_u32_e64 s2, v4, v5
	s_xor_b32 s4, vcc_lo, s2
	s_and_saveexec_b32 s2, s4
	s_cbranch_execz .LBB1_14
; %bb.13:
	v_add_nc_u32_e32 v13, 0x800, v10
	ds_load_2addr_b32 v[14:15], v13 offset1:8
	ds_store_2addr_b32 v10, v5, v4 offset1:8
	s_wait_dscnt 0x1
	ds_store_2addr_b32 v13, v15, v14 offset1:8
.LBB1_14:
	s_or_b32 exec_lo, exec_lo, s2
	s_wait_dscnt 0x0
	s_barrier_signal -1
	s_barrier_wait -1
	ds_load_2addr_b32 v[4:5], v3 offset1:4
	s_wait_dscnt 0x0
	v_cmp_le_u32_e64 s2, v4, v5
	s_xor_b32 s4, vcc_lo, s2
	s_delay_alu instid0(SALU_CYCLE_1)
	s_and_saveexec_b32 s2, s4
	s_cbranch_execz .LBB1_16
; %bb.15:
	v_add_nc_u32_e32 v13, 0x800, v3
	ds_load_2addr_b32 v[14:15], v13 offset1:4
	ds_store_2addr_b32 v3, v5, v4 offset1:4
	s_wait_dscnt 0x1
	ds_store_2addr_b32 v13, v15, v14 offset1:4
.LBB1_16:
	s_or_b32 exec_lo, exec_lo, s2
	s_wait_dscnt 0x0
	s_barrier_signal -1
	s_barrier_wait -1
	ds_load_2addr_b32 v[4:5], v9 offset1:2
	s_wait_dscnt 0x0
	v_cmp_le_u32_e64 s2, v4, v5
	s_xor_b32 s4, vcc_lo, s2
	s_delay_alu instid0(SALU_CYCLE_1)
	s_and_saveexec_b32 s2, s4
	s_cbranch_execz .LBB1_18
; %bb.17:
	v_add_nc_u32_e32 v13, 0x800, v9
	ds_load_2addr_b32 v[14:15], v13 offset1:2
	ds_store_2addr_b32 v9, v5, v4 offset1:2
	s_wait_dscnt 0x1
	ds_store_2addr_b32 v13, v15, v14 offset1:2
.LBB1_18:
	s_or_b32 exec_lo, exec_lo, s2
	s_wait_dscnt 0x0
	s_barrier_signal -1
	s_barrier_wait -1
	ds_load_b64 v[4:5], v8
	s_wait_dscnt 0x0
	v_cmp_le_u32_e64 s2, v4, v5
	s_xor_b32 s4, vcc_lo, s2
	s_delay_alu instid0(SALU_CYCLE_1)
	s_and_saveexec_b32 s2, s4
	s_cbranch_execz .LBB1_20
; %bb.19:
	ds_load_b64 v[14:15], v12
	v_dual_mov_b32 v16, v5 :: v_dual_mov_b32 v17, v4
	s_wait_dscnt 0x0
	v_dual_mov_b32 v4, v15 :: v_dual_mov_b32 v5, v14
	ds_store_b64 v8, v[16:17]
	ds_store_b64 v12, v[4:5]
.LBB1_20:
	s_or_b32 exec_lo, exec_lo, s2
	v_and_b32_e32 v4, 15, v0
	s_wait_dscnt 0x0
	s_barrier_signal -1
	s_barrier_wait -1
	s_delay_alu instid0(VALU_DEP_1) | instskip(NEXT) | instid1(VALU_DEP_1)
	v_dual_sub_nc_u32 v4, v1, v4 :: v_dual_bitop2_b32 v12, 16, v11 bitop3:0x40
	v_lshlrev_b32_e32 v13, 2, v4
	s_delay_alu instid0(VALU_DEP_2) | instskip(SKIP_4) | instid1(SALU_CYCLE_1)
	v_cmp_ne_u32_e32 vcc_lo, 0, v12
	ds_load_2addr_b32 v[4:5], v13 offset1:16
	s_wait_dscnt 0x0
	v_cmp_le_u32_e64 s2, v4, v5
	s_xor_b32 s4, vcc_lo, s2
	s_and_saveexec_b32 s2, s4
	s_cbranch_execz .LBB1_22
; %bb.21:
	v_add_nc_u32_e32 v12, 0x800, v13
	ds_load_2addr_b32 v[14:15], v12 offset1:16
	ds_store_2addr_b32 v13, v5, v4 offset1:16
	s_wait_dscnt 0x1
	ds_store_2addr_b32 v12, v15, v14 offset1:16
.LBB1_22:
	s_or_b32 exec_lo, exec_lo, s2
	s_wait_dscnt 0x0
	s_barrier_signal -1
	s_barrier_wait -1
	ds_load_2addr_b32 v[4:5], v10 offset1:8
	s_wait_dscnt 0x0
	v_cmp_le_u32_e64 s2, v4, v5
	s_xor_b32 s4, vcc_lo, s2
	s_delay_alu instid0(SALU_CYCLE_1)
	s_and_saveexec_b32 s2, s4
	s_cbranch_execz .LBB1_24
; %bb.23:
	v_add_nc_u32_e32 v12, 0x800, v10
	ds_load_2addr_b32 v[14:15], v12 offset1:8
	ds_store_2addr_b32 v10, v5, v4 offset1:8
	s_wait_dscnt 0x1
	ds_store_2addr_b32 v12, v15, v14 offset1:8
.LBB1_24:
	s_or_b32 exec_lo, exec_lo, s2
	s_wait_dscnt 0x0
	s_barrier_signal -1
	s_barrier_wait -1
	ds_load_2addr_b32 v[4:5], v3 offset1:4
	s_wait_dscnt 0x0
	v_cmp_le_u32_e64 s2, v4, v5
	s_xor_b32 s4, vcc_lo, s2
	s_delay_alu instid0(SALU_CYCLE_1)
	;; [unrolled: 18-line block ×3, first 2 shown]
	s_and_saveexec_b32 s2, s4
	s_cbranch_execz .LBB1_28
; %bb.27:
	v_add_nc_u32_e32 v12, 0x800, v9
	ds_load_2addr_b32 v[14:15], v12 offset1:2
	ds_store_2addr_b32 v9, v5, v4 offset1:2
	s_wait_dscnt 0x1
	ds_store_2addr_b32 v12, v15, v14 offset1:2
.LBB1_28:
	s_or_b32 exec_lo, exec_lo, s2
	s_wait_dscnt 0x0
	s_barrier_signal -1
	s_barrier_wait -1
	ds_load_b64 v[4:5], v8
	v_lshlrev_b32_e32 v12, 2, v1
	s_wait_dscnt 0x0
	v_cmp_le_u32_e64 s2, v4, v5
	s_xor_b32 s4, vcc_lo, s2
	s_delay_alu instid0(SALU_CYCLE_1)
	s_and_saveexec_b32 s2, s4
	s_cbranch_execz .LBB1_30
; %bb.29:
	ds_load_b64 v[14:15], v12 offset:2048
	v_dual_mov_b32 v16, v5 :: v_dual_mov_b32 v17, v4
	s_wait_dscnt 0x0
	v_dual_mov_b32 v4, v15 :: v_dual_mov_b32 v5, v14
	ds_store_b64 v8, v[16:17]
	ds_store_b64 v12, v[4:5] offset:2048
.LBB1_30:
	s_or_b32 exec_lo, exec_lo, s2
	v_and_b32_e32 v4, 31, v0
	s_wait_dscnt 0x0
	s_barrier_signal -1
	s_barrier_wait -1
	s_delay_alu instid0(VALU_DEP_1) | instskip(NEXT) | instid1(VALU_DEP_1)
	v_dual_sub_nc_u32 v4, v1, v4 :: v_dual_bitop2_b32 v15, 32, v11 bitop3:0x40
	v_lshlrev_b32_e32 v14, 2, v4
	s_delay_alu instid0(VALU_DEP_2) | instskip(SKIP_4) | instid1(SALU_CYCLE_1)
	v_cmp_ne_u32_e32 vcc_lo, 0, v15
	ds_load_2addr_b32 v[4:5], v14 offset1:32
	s_wait_dscnt 0x0
	v_cmp_le_u32_e64 s2, v4, v5
	s_xor_b32 s4, vcc_lo, s2
	s_and_saveexec_b32 s2, s4
	s_cbranch_execz .LBB1_32
; %bb.31:
	v_add_nc_u32_e32 v15, 0x800, v14
	ds_load_2addr_b32 v[16:17], v15 offset1:32
	ds_store_2addr_b32 v14, v5, v4 offset1:32
	s_wait_dscnt 0x1
	ds_store_2addr_b32 v15, v17, v16 offset1:32
.LBB1_32:
	s_or_b32 exec_lo, exec_lo, s2
	s_wait_dscnt 0x0
	s_barrier_signal -1
	s_barrier_wait -1
	ds_load_2addr_b32 v[4:5], v13 offset1:16
	s_wait_dscnt 0x0
	v_cmp_le_u32_e64 s2, v4, v5
	s_xor_b32 s4, vcc_lo, s2
	s_delay_alu instid0(SALU_CYCLE_1)
	s_and_saveexec_b32 s2, s4
	s_cbranch_execz .LBB1_34
; %bb.33:
	v_add_nc_u32_e32 v15, 0x800, v13
	ds_load_2addr_b32 v[16:17], v15 offset1:16
	ds_store_2addr_b32 v13, v5, v4 offset1:16
	s_wait_dscnt 0x1
	ds_store_2addr_b32 v15, v17, v16 offset1:16
.LBB1_34:
	s_or_b32 exec_lo, exec_lo, s2
	s_wait_dscnt 0x0
	s_barrier_signal -1
	s_barrier_wait -1
	ds_load_2addr_b32 v[4:5], v10 offset1:8
	s_wait_dscnt 0x0
	v_cmp_le_u32_e64 s2, v4, v5
	s_xor_b32 s4, vcc_lo, s2
	s_delay_alu instid0(SALU_CYCLE_1)
	;; [unrolled: 18-line block ×4, first 2 shown]
	s_and_saveexec_b32 s2, s4
	s_cbranch_execz .LBB1_40
; %bb.39:
	v_add_nc_u32_e32 v15, 0x800, v9
	ds_load_2addr_b32 v[16:17], v15 offset1:2
	ds_store_2addr_b32 v9, v5, v4 offset1:2
	s_wait_dscnt 0x1
	ds_store_2addr_b32 v15, v17, v16 offset1:2
.LBB1_40:
	s_or_b32 exec_lo, exec_lo, s2
	s_wait_dscnt 0x0
	s_barrier_signal -1
	s_barrier_wait -1
	ds_load_b64 v[4:5], v8
	s_wait_dscnt 0x0
	v_cmp_le_u32_e64 s2, v4, v5
	s_xor_b32 s4, vcc_lo, s2
	s_delay_alu instid0(SALU_CYCLE_1)
	s_and_saveexec_b32 s2, s4
	s_cbranch_execz .LBB1_42
; %bb.41:
	ds_load_b64 v[16:17], v12 offset:2048
	v_dual_mov_b32 v18, v5 :: v_dual_mov_b32 v19, v4
	s_wait_dscnt 0x0
	v_dual_mov_b32 v4, v17 :: v_dual_mov_b32 v5, v16
	ds_store_b64 v8, v[18:19]
	ds_store_b64 v12, v[4:5] offset:2048
.LBB1_42:
	s_or_b32 exec_lo, exec_lo, s2
	v_and_b32_e32 v4, 63, v0
	s_wait_dscnt 0x0
	s_barrier_signal -1
	s_barrier_wait -1
	s_delay_alu instid0(VALU_DEP_1) | instskip(NEXT) | instid1(VALU_DEP_1)
	v_dual_sub_nc_u32 v4, v1, v4 :: v_dual_bitop2_b32 v16, 64, v11 bitop3:0x40
	v_lshlrev_b32_e32 v15, 2, v4
	s_delay_alu instid0(VALU_DEP_2) | instskip(SKIP_4) | instid1(SALU_CYCLE_1)
	v_cmp_ne_u32_e32 vcc_lo, 0, v16
	ds_load_2addr_stride64_b32 v[4:5], v15 offset1:1
	s_wait_dscnt 0x0
	v_cmp_le_u32_e64 s2, v4, v5
	s_xor_b32 s4, vcc_lo, s2
	s_and_saveexec_b32 s2, s4
	s_cbranch_execz .LBB1_44
; %bb.43:
	ds_load_2addr_stride64_b32 v[16:17], v15 offset0:8 offset1:9
	ds_store_2addr_stride64_b32 v15, v5, v4 offset1:1
	s_wait_dscnt 0x1
	ds_store_2addr_stride64_b32 v15, v17, v16 offset0:8 offset1:9
.LBB1_44:
	s_or_b32 exec_lo, exec_lo, s2
	s_wait_dscnt 0x0
	s_barrier_signal -1
	s_barrier_wait -1
	ds_load_2addr_b32 v[4:5], v14 offset1:32
	s_wait_dscnt 0x0
	v_cmp_le_u32_e64 s2, v4, v5
	s_xor_b32 s4, vcc_lo, s2
	s_delay_alu instid0(SALU_CYCLE_1)
	s_and_saveexec_b32 s2, s4
	s_cbranch_execz .LBB1_46
; %bb.45:
	v_add_nc_u32_e32 v18, 0x800, v14
	ds_load_2addr_b32 v[16:17], v18 offset1:32
	ds_store_2addr_b32 v14, v5, v4 offset1:32
	s_wait_dscnt 0x1
	ds_store_2addr_b32 v18, v17, v16 offset1:32
.LBB1_46:
	s_or_b32 exec_lo, exec_lo, s2
	s_wait_dscnt 0x0
	s_barrier_signal -1
	s_barrier_wait -1
	ds_load_2addr_b32 v[4:5], v13 offset1:16
	s_wait_dscnt 0x0
	v_cmp_le_u32_e64 s2, v4, v5
	s_xor_b32 s4, vcc_lo, s2
	s_delay_alu instid0(SALU_CYCLE_1)
	s_and_saveexec_b32 s2, s4
	s_cbranch_execz .LBB1_48
; %bb.47:
	v_add_nc_u32_e32 v18, 0x800, v13
	ds_load_2addr_b32 v[16:17], v18 offset1:16
	ds_store_2addr_b32 v13, v5, v4 offset1:16
	s_wait_dscnt 0x1
	ds_store_2addr_b32 v18, v17, v16 offset1:16
.LBB1_48:
	;; [unrolled: 18-line block ×5, first 2 shown]
	s_or_b32 exec_lo, exec_lo, s2
	s_wait_dscnt 0x0
	s_barrier_signal -1
	s_barrier_wait -1
	ds_load_b64 v[4:5], v8
	s_wait_dscnt 0x0
	v_cmp_le_u32_e64 s2, v4, v5
	s_xor_b32 s4, vcc_lo, s2
	s_delay_alu instid0(SALU_CYCLE_1)
	s_and_saveexec_b32 s2, s4
	s_cbranch_execz .LBB1_56
; %bb.55:
	ds_load_b64 v[16:17], v12 offset:2048
	v_dual_mov_b32 v18, v5 :: v_dual_mov_b32 v19, v4
	s_wait_dscnt 0x0
	v_dual_mov_b32 v4, v17 :: v_dual_mov_b32 v5, v16
	ds_store_b64 v8, v[18:19]
	ds_store_b64 v12, v[4:5] offset:2048
.LBB1_56:
	s_or_b32 exec_lo, exec_lo, s2
	v_and_b32_e32 v4, 0x7f, v0
	s_wait_dscnt 0x0
	s_barrier_signal -1
	s_barrier_wait -1
	s_delay_alu instid0(VALU_DEP_1) | instskip(SKIP_1) | instid1(VALU_DEP_2)
	v_sub_nc_u32_e32 v4, v1, v4
	v_and_b32_e32 v11, 0x80, v11
	v_lshlrev_b32_e32 v16, 2, v4
	s_delay_alu instid0(VALU_DEP_2) | instskip(SKIP_4) | instid1(SALU_CYCLE_1)
	v_cmp_ne_u32_e32 vcc_lo, 0, v11
	ds_load_2addr_stride64_b32 v[4:5], v16 offset1:2
	s_wait_dscnt 0x0
	v_cmp_le_u32_e64 s2, v4, v5
	s_xor_b32 s4, vcc_lo, s2
	s_and_saveexec_b32 s2, s4
	s_cbranch_execz .LBB1_58
; %bb.57:
	ds_load_2addr_stride64_b32 v[18:19], v16 offset0:8 offset1:10
	ds_store_2addr_stride64_b32 v16, v5, v4 offset1:2
	s_wait_dscnt 0x1
	ds_store_2addr_stride64_b32 v16, v19, v18 offset0:8 offset1:10
.LBB1_58:
	s_or_b32 exec_lo, exec_lo, s2
	s_wait_dscnt 0x0
	s_barrier_signal -1
	s_barrier_wait -1
	ds_load_2addr_stride64_b32 v[4:5], v15 offset1:1
	s_wait_dscnt 0x0
	v_cmp_le_u32_e64 s2, v4, v5
	s_xor_b32 s4, vcc_lo, s2
	s_delay_alu instid0(SALU_CYCLE_1)
	s_and_saveexec_b32 s2, s4
	s_cbranch_execz .LBB1_60
; %bb.59:
	ds_load_2addr_stride64_b32 v[18:19], v15 offset0:8 offset1:9
	ds_store_2addr_stride64_b32 v15, v5, v4 offset1:1
	s_wait_dscnt 0x1
	ds_store_2addr_stride64_b32 v15, v19, v18 offset0:8 offset1:9
.LBB1_60:
	s_or_b32 exec_lo, exec_lo, s2
	s_wait_dscnt 0x0
	s_barrier_signal -1
	s_barrier_wait -1
	ds_load_2addr_b32 v[4:5], v14 offset1:32
	s_wait_dscnt 0x0
	v_cmp_le_u32_e64 s2, v4, v5
	s_xor_b32 s4, vcc_lo, s2
	s_delay_alu instid0(SALU_CYCLE_1)
	s_and_saveexec_b32 s2, s4
	s_cbranch_execz .LBB1_62
; %bb.61:
	v_add_nc_u32_e32 v11, 0x800, v14
	ds_load_2addr_b32 v[18:19], v11 offset1:32
	ds_store_2addr_b32 v14, v5, v4 offset1:32
	s_wait_dscnt 0x1
	ds_store_2addr_b32 v11, v19, v18 offset1:32
.LBB1_62:
	s_or_b32 exec_lo, exec_lo, s2
	s_wait_dscnt 0x0
	s_barrier_signal -1
	s_barrier_wait -1
	ds_load_2addr_b32 v[4:5], v13 offset1:16
	s_wait_dscnt 0x0
	v_cmp_le_u32_e64 s2, v4, v5
	s_xor_b32 s4, vcc_lo, s2
	s_delay_alu instid0(SALU_CYCLE_1)
	s_and_saveexec_b32 s2, s4
	s_cbranch_execz .LBB1_64
; %bb.63:
	v_add_nc_u32_e32 v11, 0x800, v13
	ds_load_2addr_b32 v[18:19], v11 offset1:16
	ds_store_2addr_b32 v13, v5, v4 offset1:16
	s_wait_dscnt 0x1
	ds_store_2addr_b32 v11, v19, v18 offset1:16
.LBB1_64:
	;; [unrolled: 18-line block ×5, first 2 shown]
	s_or_b32 exec_lo, exec_lo, s2
	s_wait_dscnt 0x0
	s_barrier_signal -1
	s_barrier_wait -1
	ds_load_b64 v[4:5], v8
	s_wait_dscnt 0x0
	v_cmp_le_u32_e64 s2, v4, v5
	s_xor_b32 s4, vcc_lo, s2
	s_delay_alu instid0(SALU_CYCLE_1)
	s_and_saveexec_b32 s2, s4
	s_cbranch_execz .LBB1_72
; %bb.71:
	ds_load_b64 v[18:19], v12 offset:2048
	v_dual_mov_b32 v20, v5 :: v_dual_mov_b32 v21, v4
	s_wait_dscnt 0x0
	v_dual_mov_b32 v4, v19 :: v_dual_mov_b32 v5, v18
	ds_store_b64 v8, v[20:21]
	ds_store_b64 v12, v[4:5] offset:2048
.LBB1_72:
	s_or_b32 exec_lo, exec_lo, s2
	v_and_b32_e32 v0, 0xff, v0
	s_wait_dscnt 0x0
	s_barrier_signal -1
	s_barrier_wait -1
	s_delay_alu instid0(VALU_DEP_1) | instskip(SKIP_2) | instid1(VALU_DEP_1)
	v_sub_nc_u32_e32 v0, v1, v0
	s_bitcmp1_b32 s3, 0
	s_cselect_b32 s4, -1, 0
	v_lshlrev_b32_e32 v4, 2, v0
	ds_load_2addr_stride64_b32 v[0:1], v4 offset1:4
	s_wait_dscnt 0x0
	v_cmp_le_u32_e32 vcc_lo, v0, v1
	s_xor_b32 s3, vcc_lo, s4
	s_delay_alu instid0(SALU_CYCLE_1)
	s_and_saveexec_b32 s2, s3
	s_cbranch_execz .LBB1_74
; %bb.73:
	ds_load_2addr_stride64_b32 v[18:19], v4 offset0:8 offset1:12
	ds_store_2addr_stride64_b32 v4, v1, v0 offset1:4
	s_wait_dscnt 0x1
	ds_store_2addr_stride64_b32 v4, v19, v18 offset0:8 offset1:12
.LBB1_74:
	s_or_b32 exec_lo, exec_lo, s2
	s_wait_dscnt 0x0
	s_barrier_signal -1
	s_barrier_wait -1
	ds_load_2addr_stride64_b32 v[0:1], v16 offset1:2
	s_wait_dscnt 0x0
	v_cmp_le_u32_e32 vcc_lo, v0, v1
	s_xor_b32 s3, vcc_lo, s4
	s_delay_alu instid0(SALU_CYCLE_1)
	s_and_saveexec_b32 s2, s3
	s_cbranch_execz .LBB1_76
; %bb.75:
	ds_load_2addr_stride64_b32 v[4:5], v16 offset0:8 offset1:10
	ds_store_2addr_stride64_b32 v16, v1, v0 offset1:2
	s_wait_dscnt 0x1
	ds_store_2addr_stride64_b32 v16, v5, v4 offset0:8 offset1:10
.LBB1_76:
	s_or_b32 exec_lo, exec_lo, s2
	s_wait_dscnt 0x0
	s_barrier_signal -1
	s_barrier_wait -1
	;; [unrolled: 17-line block ×3, first 2 shown]
	ds_load_2addr_b32 v[0:1], v14 offset1:32
	s_wait_dscnt 0x0
	v_cmp_le_u32_e32 vcc_lo, v0, v1
	s_xor_b32 s3, vcc_lo, s4
	s_delay_alu instid0(SALU_CYCLE_1)
	s_and_saveexec_b32 s2, s3
	s_cbranch_execz .LBB1_80
; %bb.79:
	v_add_nc_u32_e32 v11, 0x800, v14
	ds_load_2addr_b32 v[4:5], v11 offset1:32
	ds_store_2addr_b32 v14, v1, v0 offset1:32
	s_wait_dscnt 0x1
	ds_store_2addr_b32 v11, v5, v4 offset1:32
.LBB1_80:
	s_or_b32 exec_lo, exec_lo, s2
	s_wait_dscnt 0x0
	s_barrier_signal -1
	s_barrier_wait -1
	ds_load_2addr_b32 v[0:1], v13 offset1:16
	s_wait_dscnt 0x0
	v_cmp_le_u32_e32 vcc_lo, v0, v1
	s_xor_b32 s3, vcc_lo, s4
	s_delay_alu instid0(SALU_CYCLE_1)
	s_and_saveexec_b32 s2, s3
	s_cbranch_execz .LBB1_82
; %bb.81:
	v_add_nc_u32_e32 v11, 0x800, v13
	ds_load_2addr_b32 v[4:5], v11 offset1:16
	ds_store_2addr_b32 v13, v1, v0 offset1:16
	s_wait_dscnt 0x1
	ds_store_2addr_b32 v11, v5, v4 offset1:16
.LBB1_82:
	s_or_b32 exec_lo, exec_lo, s2
	s_wait_dscnt 0x0
	s_barrier_signal -1
	s_barrier_wait -1
	ds_load_2addr_b32 v[0:1], v10 offset1:8
	s_wait_dscnt 0x0
	v_cmp_le_u32_e32 vcc_lo, v0, v1
	s_xor_b32 s3, vcc_lo, s4
	s_delay_alu instid0(SALU_CYCLE_1)
	s_and_saveexec_b32 s2, s3
	s_cbranch_execz .LBB1_84
; %bb.83:
	v_add_nc_u32_e32 v11, 0x800, v10
	ds_load_2addr_b32 v[4:5], v11 offset1:8
	ds_store_2addr_b32 v10, v1, v0 offset1:8
	s_wait_dscnt 0x1
	ds_store_2addr_b32 v11, v5, v4 offset1:8
.LBB1_84:
	s_or_b32 exec_lo, exec_lo, s2
	s_wait_dscnt 0x0
	s_barrier_signal -1
	s_barrier_wait -1
	ds_load_2addr_b32 v[0:1], v3 offset1:4
	s_wait_dscnt 0x0
	v_cmp_le_u32_e32 vcc_lo, v0, v1
	s_xor_b32 s3, vcc_lo, s4
	s_delay_alu instid0(SALU_CYCLE_1)
	s_and_saveexec_b32 s2, s3
	s_cbranch_execz .LBB1_86
; %bb.85:
	v_add_nc_u32_e32 v10, 0x800, v3
	ds_load_2addr_b32 v[4:5], v10 offset1:4
	ds_store_2addr_b32 v3, v1, v0 offset1:4
	s_wait_dscnt 0x1
	ds_store_2addr_b32 v10, v5, v4 offset1:4
.LBB1_86:
	s_or_b32 exec_lo, exec_lo, s2
	s_wait_dscnt 0x0
	s_barrier_signal -1
	s_barrier_wait -1
	ds_load_2addr_b32 v[0:1], v9 offset1:2
	v_mov_b32_e32 v3, 0
	s_wait_dscnt 0x0
	v_cmp_le_u32_e32 vcc_lo, v0, v1
	s_xor_b32 s3, vcc_lo, s4
	s_delay_alu instid0(SALU_CYCLE_1)
	s_and_saveexec_b32 s2, s3
	s_cbranch_execz .LBB1_88
; %bb.87:
	v_add_nc_u32_e32 v10, 0x800, v9
	ds_load_2addr_b32 v[4:5], v10 offset1:2
	ds_store_2addr_b32 v9, v1, v0 offset1:2
	s_wait_dscnt 0x1
	ds_store_2addr_b32 v10, v5, v4 offset1:2
.LBB1_88:
	s_or_b32 exec_lo, exec_lo, s2
	s_wait_dscnt 0x0
	s_barrier_signal -1
	s_barrier_wait -1
	ds_load_b64 v[0:1], v8
	s_load_b128 s[0:3], s[0:1], 0x0
	s_wait_dscnt 0x0
	v_cmp_le_u32_e32 vcc_lo, v0, v1
	s_xor_b32 s5, vcc_lo, s4
	s_delay_alu instid0(SALU_CYCLE_1)
	s_and_saveexec_b32 s4, s5
	s_cbranch_execz .LBB1_90
; %bb.89:
	ds_load_b64 v[4:5], v12 offset:2048
	v_dual_mov_b32 v10, v1 :: v_dual_mov_b32 v11, v0
	s_wait_dscnt 0x0
	v_dual_mov_b32 v0, v5 :: v_dual_mov_b32 v1, v4
	ds_store_b64 v8, v[10:11]
	ds_store_b64 v12, v[0:1] offset:2048
.LBB1_90:
	s_or_b32 exec_lo, exec_lo, s4
	s_wait_dscnt 0x0
	s_barrier_signal -1
	s_barrier_wait -1
	ds_load_2addr_stride64_b32 v[0:1], v6 offset1:4
	ds_load_2addr_stride64_b32 v[4:5], v7 offset1:4
	v_lshlrev_b64_e32 v[2:3], 2, v[2:3]
	s_wait_kmcnt 0x0
	s_delay_alu instid0(VALU_DEP_1)
	v_add_nc_u64_e32 v[6:7], s[0:1], v[2:3]
	v_add_nc_u64_e32 v[2:3], s[2:3], v[2:3]
	s_wait_dscnt 0x1
	s_clause 0x1
	global_store_b32 v[6:7], v0, off
	global_store_b32 v[6:7], v1, off offset:1024
	s_wait_dscnt 0x0
	s_clause 0x1
	global_store_b32 v[2:3], v4, off
	global_store_b32 v[2:3], v5, off offset:1024
	s_endpgm
	.section	.rodata,"a",@progbits
	.p2align	6, 0x0
	.amdhsa_kernel _Z17bitonicSortLocal1PjS_PKjS1_
		.amdhsa_group_segment_fixed_size 4096
		.amdhsa_private_segment_fixed_size 0
		.amdhsa_kernarg_size 288
		.amdhsa_user_sgpr_count 2
		.amdhsa_user_sgpr_dispatch_ptr 0
		.amdhsa_user_sgpr_queue_ptr 0
		.amdhsa_user_sgpr_kernarg_segment_ptr 1
		.amdhsa_user_sgpr_dispatch_id 0
		.amdhsa_user_sgpr_kernarg_preload_length 0
		.amdhsa_user_sgpr_kernarg_preload_offset 0
		.amdhsa_user_sgpr_private_segment_size 0
		.amdhsa_wavefront_size32 1
		.amdhsa_uses_dynamic_stack 0
		.amdhsa_enable_private_segment 0
		.amdhsa_system_sgpr_workgroup_id_x 1
		.amdhsa_system_sgpr_workgroup_id_y 0
		.amdhsa_system_sgpr_workgroup_id_z 0
		.amdhsa_system_sgpr_workgroup_info 0
		.amdhsa_system_vgpr_workitem_id 0
		.amdhsa_next_free_vgpr 22
		.amdhsa_next_free_sgpr 9
		.amdhsa_named_barrier_count 0
		.amdhsa_reserve_vcc 1
		.amdhsa_float_round_mode_32 0
		.amdhsa_float_round_mode_16_64 0
		.amdhsa_float_denorm_mode_32 3
		.amdhsa_float_denorm_mode_16_64 3
		.amdhsa_fp16_overflow 0
		.amdhsa_memory_ordered 1
		.amdhsa_forward_progress 1
		.amdhsa_inst_pref_size 36
		.amdhsa_round_robin_scheduling 0
		.amdhsa_exception_fp_ieee_invalid_op 0
		.amdhsa_exception_fp_denorm_src 0
		.amdhsa_exception_fp_ieee_div_zero 0
		.amdhsa_exception_fp_ieee_overflow 0
		.amdhsa_exception_fp_ieee_underflow 0
		.amdhsa_exception_fp_ieee_inexact 0
		.amdhsa_exception_int_div_zero 0
	.end_amdhsa_kernel
	.text
.Lfunc_end1:
	.size	_Z17bitonicSortLocal1PjS_PKjS1_, .Lfunc_end1-_Z17bitonicSortLocal1PjS_PKjS1_
                                        ; -- End function
	.set _Z17bitonicSortLocal1PjS_PKjS1_.num_vgpr, 22
	.set _Z17bitonicSortLocal1PjS_PKjS1_.num_agpr, 0
	.set _Z17bitonicSortLocal1PjS_PKjS1_.numbered_sgpr, 9
	.set _Z17bitonicSortLocal1PjS_PKjS1_.num_named_barrier, 0
	.set _Z17bitonicSortLocal1PjS_PKjS1_.private_seg_size, 0
	.set _Z17bitonicSortLocal1PjS_PKjS1_.uses_vcc, 1
	.set _Z17bitonicSortLocal1PjS_PKjS1_.uses_flat_scratch, 0
	.set _Z17bitonicSortLocal1PjS_PKjS1_.has_dyn_sized_stack, 0
	.set _Z17bitonicSortLocal1PjS_PKjS1_.has_recursion, 0
	.set _Z17bitonicSortLocal1PjS_PKjS1_.has_indirect_call, 0
	.section	.AMDGPU.csdata,"",@progbits
; Kernel info:
; codeLenInByte = 4504
; TotalNumSgprs: 11
; NumVgprs: 22
; ScratchSize: 0
; MemoryBound: 0
; FloatMode: 240
; IeeeMode: 1
; LDSByteSize: 4096 bytes/workgroup (compile time only)
; SGPRBlocks: 0
; VGPRBlocks: 1
; NumSGPRsForWavesPerEU: 11
; NumVGPRsForWavesPerEU: 22
; NamedBarCnt: 0
; Occupancy: 16
; WaveLimiterHint : 0
; COMPUTE_PGM_RSRC2:SCRATCH_EN: 0
; COMPUTE_PGM_RSRC2:USER_SGPR: 2
; COMPUTE_PGM_RSRC2:TRAP_HANDLER: 0
; COMPUTE_PGM_RSRC2:TGID_X_EN: 1
; COMPUTE_PGM_RSRC2:TGID_Y_EN: 0
; COMPUTE_PGM_RSRC2:TGID_Z_EN: 0
; COMPUTE_PGM_RSRC2:TIDIG_COMP_CNT: 0
	.text
	.protected	_Z18bitonicMergeGlobalPjS_PKjS1_jjjj ; -- Begin function _Z18bitonicMergeGlobalPjS_PKjS1_jjjj
	.globl	_Z18bitonicMergeGlobalPjS_PKjS1_jjjj
	.p2align	8
	.type	_Z18bitonicMergeGlobalPjS_PKjS1_jjjj,@function
_Z18bitonicMergeGlobalPjS_PKjS1_jjjj:   ; @_Z18bitonicMergeGlobalPjS_PKjS1_jjjj
; %bb.0:
	s_load_b32 s2, s[0:1], 0x3c
	s_bfe_u32 s3, ttmp6, 0x4000c
	s_load_b256 s[4:11], s[0:1], 0x10
	s_add_co_i32 s3, s3, 1
	s_and_b32 s12, ttmp6, 15
	s_mul_i32 s3, ttmp9, s3
	s_getreg_b32 s13, hwreg(HW_REG_IB_STS2, 6, 4)
	s_add_co_i32 s12, s12, s3
	s_wait_kmcnt 0x0
	s_and_b32 s2, s2, 0xffff
	s_cmp_eq_u32 s13, 0
	s_cselect_b32 s3, ttmp9, s12
	s_delay_alu instid0(SALU_CYCLE_1)
	v_mad_u32 v1, s3, s2, v0
	s_add_co_i32 s2, s10, -1
	s_delay_alu instid0(VALU_DEP_1) | instid1(SALU_CYCLE_1)
	v_dual_lshlrev_b32 v0, 1, v1 :: v_dual_bitop2_b32 v2, s2, v1 bitop3:0x40
	s_add_co_i32 s2, s8, -2
	s_delay_alu instid0(SALU_CYCLE_1) | instskip(NEXT) | instid1(SALU_CYCLE_1)
	s_and_b32 s2, s9, s2
	s_lshr_b32 s2, s2, 1
	s_delay_alu instid0(VALU_DEP_1) | instid1(SALU_CYCLE_1)
	v_dual_sub_nc_u32 v0, v0, v2 :: v_dual_bitop2_b32 v1, s2, v1 bitop3:0x40
	s_load_b128 s[0:3], s[0:1], 0x0
	s_delay_alu instid0(VALU_DEP_1) | instskip(NEXT) | instid1(VALU_DEP_2)
	v_add_nc_u32_e32 v2, s10, v0
	v_cmp_ne_u32_e32 vcc_lo, 0, v1
	v_mov_b32_e32 v1, 0
	s_clause 0x3
	global_load_b32 v4, v2, s[4:5] scale_offset
	global_load_b32 v7, v0, s[4:5] scale_offset
	;; [unrolled: 1-line block ×4, first 2 shown]
	v_cndmask_b32_e64 v3, 0, 1, vcc_lo
	s_delay_alu instid0(VALU_DEP_1) | instskip(SKIP_4) | instid1(VALU_DEP_1)
	v_dual_mov_b32 v3, v1 :: v_dual_bitop2_b32 v9, s11, v3 bitop3:0x14
	s_wait_loadcnt 0x2
	v_cmp_gt_u32_e32 vcc_lo, v7, v4
	v_mov_b32_e32 v6, v7
	v_cndmask_b32_e64 v10, 0, 1, vcc_lo
	v_cmp_eq_u32_e32 vcc_lo, v9, v10
	s_wait_loadcnt 0x1
	v_mov_b32_e32 v9, v8
	s_wait_xcnt 0x0
	s_and_saveexec_b32 s4, vcc_lo
	s_cbranch_execz .LBB2_2
; %bb.1:
	s_wait_loadcnt 0x0
	v_dual_mov_b32 v6, v4 :: v_dual_mov_b32 v9, v5
	v_dual_mov_b32 v4, v7 :: v_dual_mov_b32 v5, v8
.LBB2_2:
	s_or_b32 exec_lo, exec_lo, s4
	v_lshlrev_b64_e32 v[0:1], 2, v[0:1]
	v_lshlrev_b64_e32 v[2:3], 2, v[2:3]
	s_wait_kmcnt 0x0
	s_delay_alu instid0(VALU_DEP_2) | instskip(SKIP_1) | instid1(VALU_DEP_3)
	v_add_nc_u64_e32 v[10:11], s[0:1], v[0:1]
	v_add_nc_u64_e32 v[0:1], s[2:3], v[0:1]
	;; [unrolled: 1-line block ×4, first 2 shown]
	global_store_b32 v[10:11], v6, off
	global_store_b32 v[0:1], v9, off
	;; [unrolled: 1-line block ×3, first 2 shown]
	s_wait_loadcnt 0x0
	global_store_b32 v[2:3], v5, off
	s_endpgm
	.section	.rodata,"a",@progbits
	.p2align	6, 0x0
	.amdhsa_kernel _Z18bitonicMergeGlobalPjS_PKjS1_jjjj
		.amdhsa_group_segment_fixed_size 0
		.amdhsa_private_segment_fixed_size 0
		.amdhsa_kernarg_size 304
		.amdhsa_user_sgpr_count 2
		.amdhsa_user_sgpr_dispatch_ptr 0
		.amdhsa_user_sgpr_queue_ptr 0
		.amdhsa_user_sgpr_kernarg_segment_ptr 1
		.amdhsa_user_sgpr_dispatch_id 0
		.amdhsa_user_sgpr_kernarg_preload_length 0
		.amdhsa_user_sgpr_kernarg_preload_offset 0
		.amdhsa_user_sgpr_private_segment_size 0
		.amdhsa_wavefront_size32 1
		.amdhsa_uses_dynamic_stack 0
		.amdhsa_enable_private_segment 0
		.amdhsa_system_sgpr_workgroup_id_x 1
		.amdhsa_system_sgpr_workgroup_id_y 0
		.amdhsa_system_sgpr_workgroup_id_z 0
		.amdhsa_system_sgpr_workgroup_info 0
		.amdhsa_system_vgpr_workitem_id 0
		.amdhsa_next_free_vgpr 14
		.amdhsa_next_free_sgpr 14
		.amdhsa_named_barrier_count 0
		.amdhsa_reserve_vcc 1
		.amdhsa_float_round_mode_32 0
		.amdhsa_float_round_mode_16_64 0
		.amdhsa_float_denorm_mode_32 3
		.amdhsa_float_denorm_mode_16_64 3
		.amdhsa_fp16_overflow 0
		.amdhsa_memory_ordered 1
		.amdhsa_forward_progress 1
		.amdhsa_inst_pref_size 3
		.amdhsa_round_robin_scheduling 0
		.amdhsa_exception_fp_ieee_invalid_op 0
		.amdhsa_exception_fp_denorm_src 0
		.amdhsa_exception_fp_ieee_div_zero 0
		.amdhsa_exception_fp_ieee_overflow 0
		.amdhsa_exception_fp_ieee_underflow 0
		.amdhsa_exception_fp_ieee_inexact 0
		.amdhsa_exception_int_div_zero 0
	.end_amdhsa_kernel
	.text
.Lfunc_end2:
	.size	_Z18bitonicMergeGlobalPjS_PKjS1_jjjj, .Lfunc_end2-_Z18bitonicMergeGlobalPjS_PKjS1_jjjj
                                        ; -- End function
	.set _Z18bitonicMergeGlobalPjS_PKjS1_jjjj.num_vgpr, 14
	.set _Z18bitonicMergeGlobalPjS_PKjS1_jjjj.num_agpr, 0
	.set _Z18bitonicMergeGlobalPjS_PKjS1_jjjj.numbered_sgpr, 14
	.set _Z18bitonicMergeGlobalPjS_PKjS1_jjjj.num_named_barrier, 0
	.set _Z18bitonicMergeGlobalPjS_PKjS1_jjjj.private_seg_size, 0
	.set _Z18bitonicMergeGlobalPjS_PKjS1_jjjj.uses_vcc, 1
	.set _Z18bitonicMergeGlobalPjS_PKjS1_jjjj.uses_flat_scratch, 0
	.set _Z18bitonicMergeGlobalPjS_PKjS1_jjjj.has_dyn_sized_stack, 0
	.set _Z18bitonicMergeGlobalPjS_PKjS1_jjjj.has_recursion, 0
	.set _Z18bitonicMergeGlobalPjS_PKjS1_jjjj.has_indirect_call, 0
	.section	.AMDGPU.csdata,"",@progbits
; Kernel info:
; codeLenInByte = 384
; TotalNumSgprs: 16
; NumVgprs: 14
; ScratchSize: 0
; MemoryBound: 0
; FloatMode: 240
; IeeeMode: 1
; LDSByteSize: 0 bytes/workgroup (compile time only)
; SGPRBlocks: 0
; VGPRBlocks: 0
; NumSGPRsForWavesPerEU: 16
; NumVGPRsForWavesPerEU: 14
; NamedBarCnt: 0
; Occupancy: 16
; WaveLimiterHint : 0
; COMPUTE_PGM_RSRC2:SCRATCH_EN: 0
; COMPUTE_PGM_RSRC2:USER_SGPR: 2
; COMPUTE_PGM_RSRC2:TRAP_HANDLER: 0
; COMPUTE_PGM_RSRC2:TGID_X_EN: 1
; COMPUTE_PGM_RSRC2:TGID_Y_EN: 0
; COMPUTE_PGM_RSRC2:TGID_Z_EN: 0
; COMPUTE_PGM_RSRC2:TIDIG_COMP_CNT: 0
	.text
	.protected	_Z17bitonicMergeLocalPjS_PKjS1_jjjj ; -- Begin function _Z17bitonicMergeLocalPjS_PKjS1_jjjj
	.globl	_Z17bitonicMergeLocalPjS_PKjS1_jjjj
	.p2align	8
	.type	_Z17bitonicMergeLocalPjS_PKjS1_jjjj,@function
_Z17bitonicMergeLocalPjS_PKjS1_jjjj:    ; @_Z17bitonicMergeLocalPjS_PKjS1_jjjj
; %bb.0:
	s_load_b256 s[4:11], s[0:1], 0x10
	s_bfe_u32 s2, ttmp6, 0x4000c
	s_and_b32 s3, ttmp6, 15
	s_add_co_i32 s2, s2, 1
	s_getreg_b32 s12, hwreg(HW_REG_IB_STS2, 6, 4)
	s_mul_i32 s2, ttmp9, s2
	v_dual_lshlrev_b32 v1, 2, v0 :: v_dual_mov_b32 v3, 0
	s_add_co_i32 s3, s3, s2
	s_cmp_eq_u32 s12, 0
	s_cselect_b32 s2, ttmp9, s3
	s_delay_alu instid0(VALU_DEP_1)
	v_add_nc_u32_e32 v4, 0x800, v1
	v_lshl_add_u32 v2, s2, 9, v0
	s_wait_kmcnt 0x0
	s_clause 0x3
	global_load_b32 v5, v2, s[4:5] scale_offset
	global_load_b32 v6, v2, s[6:7] scale_offset
	global_load_b32 v7, v2, s[4:5] offset:1024 scale_offset
	global_load_b32 v8, v2, s[6:7] offset:1024 scale_offset
	s_wait_xcnt 0x0
	s_load_b128 s[4:7], s[0:1], 0x0
	s_cmp_eq_u32 s10, 0
	s_wait_loadcnt 0x1
	ds_store_2addr_stride64_b32 v1, v5, v7 offset1:4
	s_wait_loadcnt 0x0
	ds_store_2addr_stride64_b32 v1, v6, v8 offset0:8 offset1:12
	s_cbranch_scc1 .LBB3_5
; %bb.1:
	s_wait_xcnt 0x0
	s_load_b32 s0, s[0:1], 0x3c
	v_lshlrev_b32_e32 v6, 1, v0
	s_wait_kmcnt 0x0
	s_and_b32 s0, s0, 0xffff
	s_delay_alu instid0(SALU_CYCLE_1) | instskip(SKIP_1) | instid1(SALU_CYCLE_1)
	v_mad_u32 v5, s2, s0, v0
	s_add_co_i32 s0, s8, -2
	s_and_b32 s0, s9, s0
	s_delay_alu instid0(SALU_CYCLE_1)
	s_lshr_b32 s0, s0, 1
	s_delay_alu instid0(VALU_DEP_1) | instid1(SALU_CYCLE_1)
	v_and_b32_e32 v5, s0, v5
	s_delay_alu instid0(VALU_DEP_1) | instskip(SKIP_1) | instid1(VALU_DEP_1)
	v_cmp_ne_u32_e32 vcc_lo, 0, v5
	v_cndmask_b32_e64 v5, 0, 1, vcc_lo
	v_xor_b32_e32 v5, s11, v5
	s_branch .LBB3_3
.LBB3_2:                                ;   in Loop: Header=BB3_3 Depth=1
	s_or_b32 exec_lo, exec_lo, s0
	s_lshr_b32 s0, s10, 1
	s_cmp_gt_u32 s10, 1
	s_mov_b32 s10, s0
	s_cbranch_scc0 .LBB3_5
.LBB3_3:                                ; =>This Inner Loop Header: Depth=1
	s_add_co_i32 s0, s10, -1
	s_wait_dscnt 0x0
	v_and_b32_e32 v7, s0, v0
	s_barrier_signal -1
	s_barrier_wait -1
	s_mov_b32 s0, exec_lo
	s_delay_alu instid0(VALU_DEP_1) | instskip(NEXT) | instid1(VALU_DEP_1)
	v_sub_nc_u32_e32 v9, v6, v7
	v_lshlrev_b32_e32 v7, 2, v9
	s_delay_alu instid0(VALU_DEP_1)
	v_lshl_add_u32 v8, s10, 2, v7
	ds_load_b32 v10, v7
	ds_load_b32 v11, v8
	s_wait_dscnt 0x0
	v_cmp_gt_u32_e32 vcc_lo, v10, v11
	v_cndmask_b32_e64 v12, 0, 1, vcc_lo
	s_delay_alu instid0(VALU_DEP_1)
	v_cmpx_eq_u32_e64 v5, v12
	s_cbranch_execz .LBB3_2
; %bb.4:                                ;   in Loop: Header=BB3_3 Depth=1
	v_add_lshl_u32 v9, v9, s10, 2
	ds_load_b32 v12, v9 offset:2048
	ds_load_b32 v13, v7 offset:2048
	ds_store_b32 v7, v11
	ds_store_b32 v8, v10
	s_wait_dscnt 0x3
	ds_store_b32 v7, v12 offset:2048
	s_wait_dscnt 0x3
	ds_store_b32 v9, v13 offset:2048
	s_branch .LBB3_2
.LBB3_5:
	s_wait_dscnt 0x0
	s_barrier_signal -1
	s_barrier_wait -1
	ds_load_2addr_stride64_b32 v[0:1], v1 offset1:4
	ds_load_2addr_stride64_b32 v[4:5], v4 offset1:4
	v_lshlrev_b64_e32 v[2:3], 2, v[2:3]
	s_wait_kmcnt 0x0
	s_delay_alu instid0(VALU_DEP_1)
	v_add_nc_u64_e32 v[6:7], s[4:5], v[2:3]
	v_add_nc_u64_e32 v[2:3], s[6:7], v[2:3]
	s_wait_dscnt 0x1
	s_clause 0x1
	global_store_b32 v[6:7], v0, off
	global_store_b32 v[6:7], v1, off offset:1024
	s_wait_dscnt 0x0
	s_clause 0x1
	global_store_b32 v[2:3], v4, off
	global_store_b32 v[2:3], v5, off offset:1024
	s_endpgm
	.section	.rodata,"a",@progbits
	.p2align	6, 0x0
	.amdhsa_kernel _Z17bitonicMergeLocalPjS_PKjS1_jjjj
		.amdhsa_group_segment_fixed_size 4096
		.amdhsa_private_segment_fixed_size 0
		.amdhsa_kernarg_size 304
		.amdhsa_user_sgpr_count 2
		.amdhsa_user_sgpr_dispatch_ptr 0
		.amdhsa_user_sgpr_queue_ptr 0
		.amdhsa_user_sgpr_kernarg_segment_ptr 1
		.amdhsa_user_sgpr_dispatch_id 0
		.amdhsa_user_sgpr_kernarg_preload_length 0
		.amdhsa_user_sgpr_kernarg_preload_offset 0
		.amdhsa_user_sgpr_private_segment_size 0
		.amdhsa_wavefront_size32 1
		.amdhsa_uses_dynamic_stack 0
		.amdhsa_enable_private_segment 0
		.amdhsa_system_sgpr_workgroup_id_x 1
		.amdhsa_system_sgpr_workgroup_id_y 0
		.amdhsa_system_sgpr_workgroup_id_z 0
		.amdhsa_system_sgpr_workgroup_info 0
		.amdhsa_system_vgpr_workitem_id 0
		.amdhsa_next_free_vgpr 14
		.amdhsa_next_free_sgpr 13
		.amdhsa_named_barrier_count 0
		.amdhsa_reserve_vcc 1
		.amdhsa_float_round_mode_32 0
		.amdhsa_float_round_mode_16_64 0
		.amdhsa_float_denorm_mode_32 3
		.amdhsa_float_denorm_mode_16_64 3
		.amdhsa_fp16_overflow 0
		.amdhsa_memory_ordered 1
		.amdhsa_forward_progress 1
		.amdhsa_inst_pref_size 5
		.amdhsa_round_robin_scheduling 0
		.amdhsa_exception_fp_ieee_invalid_op 0
		.amdhsa_exception_fp_denorm_src 0
		.amdhsa_exception_fp_ieee_div_zero 0
		.amdhsa_exception_fp_ieee_overflow 0
		.amdhsa_exception_fp_ieee_underflow 0
		.amdhsa_exception_fp_ieee_inexact 0
		.amdhsa_exception_int_div_zero 0
	.end_amdhsa_kernel
	.text
.Lfunc_end3:
	.size	_Z17bitonicMergeLocalPjS_PKjS1_jjjj, .Lfunc_end3-_Z17bitonicMergeLocalPjS_PKjS1_jjjj
                                        ; -- End function
	.set _Z17bitonicMergeLocalPjS_PKjS1_jjjj.num_vgpr, 14
	.set _Z17bitonicMergeLocalPjS_PKjS1_jjjj.num_agpr, 0
	.set _Z17bitonicMergeLocalPjS_PKjS1_jjjj.numbered_sgpr, 13
	.set _Z17bitonicMergeLocalPjS_PKjS1_jjjj.num_named_barrier, 0
	.set _Z17bitonicMergeLocalPjS_PKjS1_jjjj.private_seg_size, 0
	.set _Z17bitonicMergeLocalPjS_PKjS1_jjjj.uses_vcc, 1
	.set _Z17bitonicMergeLocalPjS_PKjS1_jjjj.uses_flat_scratch, 0
	.set _Z17bitonicMergeLocalPjS_PKjS1_jjjj.has_dyn_sized_stack, 0
	.set _Z17bitonicMergeLocalPjS_PKjS1_jjjj.has_recursion, 0
	.set _Z17bitonicMergeLocalPjS_PKjS1_jjjj.has_indirect_call, 0
	.section	.AMDGPU.csdata,"",@progbits
; Kernel info:
; codeLenInByte = 564
; TotalNumSgprs: 15
; NumVgprs: 14
; ScratchSize: 0
; MemoryBound: 0
; FloatMode: 240
; IeeeMode: 1
; LDSByteSize: 4096 bytes/workgroup (compile time only)
; SGPRBlocks: 0
; VGPRBlocks: 0
; NumSGPRsForWavesPerEU: 15
; NumVGPRsForWavesPerEU: 14
; NamedBarCnt: 0
; Occupancy: 16
; WaveLimiterHint : 0
; COMPUTE_PGM_RSRC2:SCRATCH_EN: 0
; COMPUTE_PGM_RSRC2:USER_SGPR: 2
; COMPUTE_PGM_RSRC2:TRAP_HANDLER: 0
; COMPUTE_PGM_RSRC2:TGID_X_EN: 1
; COMPUTE_PGM_RSRC2:TGID_Y_EN: 0
; COMPUTE_PGM_RSRC2:TGID_Z_EN: 0
; COMPUTE_PGM_RSRC2:TIDIG_COMP_CNT: 0
	.text
	.p2alignl 7, 3214868480
	.fill 96, 4, 3214868480
	.section	.AMDGPU.gpr_maximums,"",@progbits
	.set amdgpu.max_num_vgpr, 0
	.set amdgpu.max_num_agpr, 0
	.set amdgpu.max_num_sgpr, 0
	.text
	.type	__hip_cuid_5bd3263622946205,@object ; @__hip_cuid_5bd3263622946205
	.section	.bss,"aw",@nobits
	.globl	__hip_cuid_5bd3263622946205
__hip_cuid_5bd3263622946205:
	.byte	0                               ; 0x0
	.size	__hip_cuid_5bd3263622946205, 1

	.ident	"AMD clang version 22.0.0git (https://github.com/RadeonOpenCompute/llvm-project roc-7.2.4 26084 f58b06dce1f9c15707c5f808fd002e18c2accf7e)"
	.section	".note.GNU-stack","",@progbits
	.addrsig
	.addrsig_sym __hip_cuid_5bd3263622946205
	.amdgpu_metadata
---
amdhsa.kernels:
  - .args:
      - .actual_access:  write_only
        .address_space:  global
        .offset:         0
        .size:           8
        .value_kind:     global_buffer
      - .actual_access:  write_only
        .address_space:  global
        .offset:         8
        .size:           8
        .value_kind:     global_buffer
      - .actual_access:  read_only
        .address_space:  global
        .offset:         16
        .size:           8
        .value_kind:     global_buffer
      - .actual_access:  read_only
        .address_space:  global
        .offset:         24
        .size:           8
        .value_kind:     global_buffer
      - .offset:         32
        .size:           4
        .value_kind:     by_value
      - .offset:         36
        .size:           4
        .value_kind:     by_value
    .group_segment_fixed_size: 4096
    .kernarg_segment_align: 8
    .kernarg_segment_size: 40
    .language:       OpenCL C
    .language_version:
      - 2
      - 0
    .max_flat_workgroup_size: 1024
    .name:           _Z16bitonicSortLocalPjS_PKjS1_jj
    .private_segment_fixed_size: 0
    .sgpr_count:     14
    .sgpr_spill_count: 0
    .symbol:         _Z16bitonicSortLocalPjS_PKjS1_jj.kd
    .uniform_work_group_size: 1
    .uses_dynamic_stack: false
    .vgpr_count:     13
    .vgpr_spill_count: 0
    .wavefront_size: 32
  - .args:
      - .actual_access:  write_only
        .address_space:  global
        .offset:         0
        .size:           8
        .value_kind:     global_buffer
      - .actual_access:  write_only
        .address_space:  global
        .offset:         8
        .size:           8
        .value_kind:     global_buffer
      - .actual_access:  read_only
        .address_space:  global
        .offset:         16
        .size:           8
        .value_kind:     global_buffer
      - .actual_access:  read_only
        .address_space:  global
        .offset:         24
        .size:           8
        .value_kind:     global_buffer
      - .offset:         32
        .size:           4
        .value_kind:     hidden_block_count_x
      - .offset:         36
        .size:           4
        .value_kind:     hidden_block_count_y
      - .offset:         40
        .size:           4
        .value_kind:     hidden_block_count_z
      - .offset:         44
        .size:           2
        .value_kind:     hidden_group_size_x
      - .offset:         46
        .size:           2
        .value_kind:     hidden_group_size_y
      - .offset:         48
        .size:           2
        .value_kind:     hidden_group_size_z
      - .offset:         50
        .size:           2
        .value_kind:     hidden_remainder_x
      - .offset:         52
        .size:           2
        .value_kind:     hidden_remainder_y
      - .offset:         54
        .size:           2
        .value_kind:     hidden_remainder_z
      - .offset:         72
        .size:           8
        .value_kind:     hidden_global_offset_x
      - .offset:         80
        .size:           8
        .value_kind:     hidden_global_offset_y
      - .offset:         88
        .size:           8
        .value_kind:     hidden_global_offset_z
      - .offset:         96
        .size:           2
        .value_kind:     hidden_grid_dims
    .group_segment_fixed_size: 4096
    .kernarg_segment_align: 8
    .kernarg_segment_size: 288
    .language:       OpenCL C
    .language_version:
      - 2
      - 0
    .max_flat_workgroup_size: 1024
    .name:           _Z17bitonicSortLocal1PjS_PKjS1_
    .private_segment_fixed_size: 0
    .sgpr_count:     11
    .sgpr_spill_count: 0
    .symbol:         _Z17bitonicSortLocal1PjS_PKjS1_.kd
    .uniform_work_group_size: 1
    .uses_dynamic_stack: false
    .vgpr_count:     22
    .vgpr_spill_count: 0
    .wavefront_size: 32
  - .args:
      - .actual_access:  write_only
        .address_space:  global
        .offset:         0
        .size:           8
        .value_kind:     global_buffer
      - .actual_access:  write_only
        .address_space:  global
        .offset:         8
        .size:           8
        .value_kind:     global_buffer
      - .actual_access:  read_only
        .address_space:  global
        .offset:         16
        .size:           8
        .value_kind:     global_buffer
      - .actual_access:  read_only
        .address_space:  global
        .offset:         24
        .size:           8
        .value_kind:     global_buffer
      - .offset:         32
        .size:           4
        .value_kind:     by_value
      - .offset:         36
        .size:           4
        .value_kind:     by_value
      - .offset:         40
        .size:           4
        .value_kind:     by_value
      - .offset:         44
        .size:           4
        .value_kind:     by_value
      - .offset:         48
        .size:           4
        .value_kind:     hidden_block_count_x
      - .offset:         52
        .size:           4
        .value_kind:     hidden_block_count_y
      - .offset:         56
        .size:           4
        .value_kind:     hidden_block_count_z
      - .offset:         60
        .size:           2
        .value_kind:     hidden_group_size_x
      - .offset:         62
        .size:           2
        .value_kind:     hidden_group_size_y
      - .offset:         64
        .size:           2
        .value_kind:     hidden_group_size_z
      - .offset:         66
        .size:           2
        .value_kind:     hidden_remainder_x
      - .offset:         68
        .size:           2
        .value_kind:     hidden_remainder_y
      - .offset:         70
        .size:           2
        .value_kind:     hidden_remainder_z
      - .offset:         88
        .size:           8
        .value_kind:     hidden_global_offset_x
      - .offset:         96
        .size:           8
        .value_kind:     hidden_global_offset_y
      - .offset:         104
        .size:           8
        .value_kind:     hidden_global_offset_z
      - .offset:         112
        .size:           2
        .value_kind:     hidden_grid_dims
    .group_segment_fixed_size: 0
    .kernarg_segment_align: 8
    .kernarg_segment_size: 304
    .language:       OpenCL C
    .language_version:
      - 2
      - 0
    .max_flat_workgroup_size: 1024
    .name:           _Z18bitonicMergeGlobalPjS_PKjS1_jjjj
    .private_segment_fixed_size: 0
    .sgpr_count:     16
    .sgpr_spill_count: 0
    .symbol:         _Z18bitonicMergeGlobalPjS_PKjS1_jjjj.kd
    .uniform_work_group_size: 1
    .uses_dynamic_stack: false
    .vgpr_count:     14
    .vgpr_spill_count: 0
    .wavefront_size: 32
  - .args:
      - .actual_access:  write_only
        .address_space:  global
        .offset:         0
        .size:           8
        .value_kind:     global_buffer
      - .actual_access:  write_only
        .address_space:  global
        .offset:         8
        .size:           8
        .value_kind:     global_buffer
      - .actual_access:  read_only
        .address_space:  global
        .offset:         16
        .size:           8
        .value_kind:     global_buffer
      - .actual_access:  read_only
        .address_space:  global
        .offset:         24
        .size:           8
        .value_kind:     global_buffer
      - .offset:         32
        .size:           4
        .value_kind:     by_value
      - .offset:         36
        .size:           4
        .value_kind:     by_value
      - .offset:         40
        .size:           4
        .value_kind:     by_value
      - .offset:         44
        .size:           4
        .value_kind:     by_value
      - .offset:         48
        .size:           4
        .value_kind:     hidden_block_count_x
      - .offset:         52
        .size:           4
        .value_kind:     hidden_block_count_y
      - .offset:         56
        .size:           4
        .value_kind:     hidden_block_count_z
      - .offset:         60
        .size:           2
        .value_kind:     hidden_group_size_x
      - .offset:         62
        .size:           2
        .value_kind:     hidden_group_size_y
      - .offset:         64
        .size:           2
        .value_kind:     hidden_group_size_z
      - .offset:         66
        .size:           2
        .value_kind:     hidden_remainder_x
      - .offset:         68
        .size:           2
        .value_kind:     hidden_remainder_y
      - .offset:         70
        .size:           2
        .value_kind:     hidden_remainder_z
      - .offset:         88
        .size:           8
        .value_kind:     hidden_global_offset_x
      - .offset:         96
        .size:           8
        .value_kind:     hidden_global_offset_y
      - .offset:         104
        .size:           8
        .value_kind:     hidden_global_offset_z
      - .offset:         112
        .size:           2
        .value_kind:     hidden_grid_dims
    .group_segment_fixed_size: 4096
    .kernarg_segment_align: 8
    .kernarg_segment_size: 304
    .language:       OpenCL C
    .language_version:
      - 2
      - 0
    .max_flat_workgroup_size: 1024
    .name:           _Z17bitonicMergeLocalPjS_PKjS1_jjjj
    .private_segment_fixed_size: 0
    .sgpr_count:     15
    .sgpr_spill_count: 0
    .symbol:         _Z17bitonicMergeLocalPjS_PKjS1_jjjj.kd
    .uniform_work_group_size: 1
    .uses_dynamic_stack: false
    .vgpr_count:     14
    .vgpr_spill_count: 0
    .wavefront_size: 32
amdhsa.target:   amdgcn-amd-amdhsa--gfx1250
amdhsa.version:
  - 1
  - 2
...

	.end_amdgpu_metadata
